;; amdgpu-corpus repo=zjin-lcf/HeCBench kind=compiled arch=gfx950 opt=O3
	.amdgcn_target "amdgcn-amd-amdhsa--gfx950"
	.amdhsa_code_object_version 6
	.text
	.protected	_Z9hypterm_1PdS_S_S_S_PKdS1_S1_S1_S1_S1_S1_S1_dddiii ; -- Begin function _Z9hypterm_1PdS_S_S_S_PKdS1_S1_S1_S1_S1_S1_S1_dddiii
	.globl	_Z9hypterm_1PdS_S_S_S_PKdS1_S1_S1_S1_S1_S1_S1_dddiii
	.p2align	8
	.type	_Z9hypterm_1PdS_S_S_S_PKdS1_S1_S1_S1_S1_S1_S1_dddiii,@function
_Z9hypterm_1PdS_S_S_S_PKdS1_S1_S1_S1_S1_S1_S1_dddiii: ; @_Z9hypterm_1PdS_S_S_S_PKdS1_S1_S1_S1_S1_S1_S1_dddiii
; %bb.0:
	s_load_dwordx2 s[6:7], s[0:1], 0x9c
	s_load_dwordx2 s[28:29], s[0:1], 0x84
	v_and_b32_e32 v1, 0x3ff, v0
	s_waitcnt lgkmcnt(0)
	s_and_b32 s5, s7, 0xffff
	s_lshr_b32 s7, s6, 16
	s_and_b32 s6, s6, 0xffff
	s_mul_i32 s2, s2, s6
	s_max_i32 s2, s2, 0
	s_mul_i32 s3, s3, s7
	v_add_u32_e32 v2, s2, v1
	s_max_i32 s2, s3, 0
	v_bfe_u32 v1, v0, 10, 10
	s_mul_i32 s4, s4, s5
	v_add_u32_e32 v4, s2, v1
	s_max_i32 s2, s4, 0
	v_bfe_u32 v0, v0, 20, 10
	v_add_u32_e32 v0, s2, v0
	v_min3_u32 v1, v2, v4, v0
	v_cmp_lt_u32_e32 vcc, 3, v1
	s_add_i32 s2, s29, -5
	v_max3_i32 v1, v2, v4, v0
	v_cmp_ge_i32_e64 s[2:3], s2, v1
	s_and_b64 s[2:3], s[2:3], vcc
	s_and_saveexec_b64 s[4:5], s[2:3]
	s_cbranch_execz .LBB0_2
; %bb.1:
	s_load_dwordx4 s[20:23], s[0:1], 0x60
	s_load_dwordx4 s[24:27], s[0:1], 0x40
	s_load_dwordx8 s[12:19], s[0:1], 0x0
	s_load_dwordx8 s[4:11], s[0:1], 0x20
	v_mad_u64_u32 v[0:1], s[0:1], v0, s28, v[4:5]
	v_mad_u64_u32 v[0:1], s[0:1], v0, s29, v[2:3]
	v_ashrrev_i32_e32 v1, 31, v0
	v_lshlrev_b64 v[32:33], 3, v[0:1]
	s_waitcnt lgkmcnt(0)
	v_lshl_add_u64 v[0:1], s[6:7], 0, v[32:33]
	global_load_dwordx4 v[34:37], v[0:1], off offset:24
	global_load_dwordx4 v[38:41], v[0:1], off offset:8
	global_load_dwordx4 v[42:45], v[0:1], off offset:-16
	global_load_dwordx4 v[46:49], v[0:1], off offset:-32
	s_brev_b32 s2, 5
	s_mov_b32 s3, 0x3fc99999
	s_mov_b32 s29, 0x3fe99999
	;; [unrolled: 1-line block ×3, first 2 shown]
	s_brev_b32 s6, 6
	s_mov_b32 s7, 0x3fa374bc
	s_mov_b32 s0, 2.0
	s_mov_b32 s1, 0xbf6cac08
	v_lshl_add_u64 v[12:13], s[26:27], 0, v[32:33]
	v_lshl_add_u64 v[50:51], s[8:9], 0, v[32:33]
	s_waitcnt vmcnt(1)
	v_add_f64 v[2:3], v[40:41], -v[42:43]
	v_add_f64 v[0:1], v[38:39], -v[44:45]
	v_mul_f64 v[2:3], v[2:3], s[2:3]
	v_fma_f64 v[0:1], v[0:1], s[28:29], -v[2:3]
	s_waitcnt vmcnt(0)
	v_add_f64 v[2:3], v[34:35], -v[48:49]
	v_fmac_f64_e32 v[0:1], s[6:7], v[2:3]
	v_add_f64 v[2:3], v[36:37], -v[46:47]
	v_fmac_f64_e32 v[0:1], s[0:1], v[2:3]
	v_mul_f64 v[0:1], v[0:1], -s[22:23]
	v_lshl_add_u64 v[2:3], s[12:13], 0, v[32:33]
	global_store_dwordx2 v[2:3], v[0:1], off
	global_load_dwordx4 v[0:3], v[12:13], off offset:24
	s_nop 0
	global_load_dwordx4 v[8:11], v[12:13], off offset:8
	global_load_dwordx4 v[20:23], v[12:13], off offset:-16
	global_load_dwordx4 v[4:7], v[12:13], off offset:-32
	s_waitcnt vmcnt(1)
	v_mul_f64 v[12:13], v[44:45], v[22:23]
	v_lshl_add_u64 v[44:45], s[20:21], 0, v[32:33]
	v_fma_f64 v[38:39], v[38:39], v[8:9], -v[12:13]
	global_load_dwordx4 v[12:15], v[44:45], off offset:24
	global_load_dwordx4 v[24:27], v[44:45], off offset:8
	global_load_dwordx4 v[28:31], v[44:45], off offset:-16
	global_load_dwordx4 v[16:19], v[44:45], off offset:-32
	v_mul_f64 v[42:43], v[42:43], v[20:21]
	v_fma_f64 v[40:41], v[40:41], v[10:11], -v[42:43]
	s_waitcnt vmcnt(1)
	v_add_f64 v[42:43], v[26:27], -v[28:29]
	v_add_f64 v[44:45], v[24:25], -v[30:31]
	v_add_f64 v[40:41], v[40:41], v[42:43]
	v_add_f64 v[38:39], v[38:39], v[44:45]
	v_mul_f64 v[40:41], v[40:41], s[2:3]
	v_fma_f64 v[38:39], v[38:39], s[28:29], -v[40:41]
	v_mul_f64 v[40:41], v[48:49], v[6:7]
	v_fma_f64 v[34:35], v[34:35], v[0:1], -v[40:41]
	s_waitcnt vmcnt(0)
	v_add_f64 v[40:41], v[12:13], -v[18:19]
	v_add_f64 v[34:35], v[34:35], v[40:41]
	v_fmac_f64_e32 v[38:39], s[6:7], v[34:35]
	v_mul_f64 v[34:35], v[46:47], v[4:5]
	v_fma_f64 v[34:35], v[36:37], v[2:3], -v[34:35]
	v_add_f64 v[36:37], v[14:15], -v[16:17]
	v_add_f64 v[34:35], v[34:35], v[36:37]
	v_fmac_f64_e32 v[38:39], s[0:1], v[34:35]
	v_mul_f64 v[34:35], v[38:39], -s[22:23]
	v_lshl_add_u64 v[36:37], s[14:15], 0, v[32:33]
	global_store_dwordx2 v[36:37], v[34:35], off
	global_load_dwordx4 v[34:37], v[50:51], off offset:24
	s_nop 0
	global_load_dwordx4 v[38:41], v[50:51], off offset:8
	global_load_dwordx4 v[42:45], v[50:51], off offset:-16
	global_load_dwordx4 v[46:49], v[50:51], off offset:-32
	v_lshl_add_u64 v[50:51], s[10:11], 0, v[32:33]
	s_waitcnt vmcnt(1)
	v_mul_f64 v[42:43], v[20:21], v[42:43]
	v_mul_f64 v[44:45], v[22:23], v[44:45]
	v_fma_f64 v[40:41], v[10:11], v[40:41], -v[42:43]
	v_fma_f64 v[38:39], v[8:9], v[38:39], -v[44:45]
	v_mul_f64 v[40:41], v[40:41], s[2:3]
	v_fma_f64 v[38:39], v[38:39], s[28:29], -v[40:41]
	s_waitcnt vmcnt(0)
	v_mul_f64 v[40:41], v[6:7], v[48:49]
	v_fma_f64 v[34:35], v[0:1], v[34:35], -v[40:41]
	v_fmac_f64_e32 v[38:39], s[6:7], v[34:35]
	v_mul_f64 v[34:35], v[4:5], v[46:47]
	v_fma_f64 v[34:35], v[2:3], v[36:37], -v[34:35]
	v_fmac_f64_e32 v[38:39], s[0:1], v[34:35]
	v_mul_f64 v[34:35], v[38:39], -s[22:23]
	v_lshl_add_u64 v[36:37], s[16:17], 0, v[32:33]
	global_store_dwordx2 v[36:37], v[34:35], off
	global_load_dwordx4 v[34:37], v[50:51], off offset:24
	s_nop 0
	global_load_dwordx4 v[38:41], v[50:51], off offset:8
	global_load_dwordx4 v[42:45], v[50:51], off offset:-16
	global_load_dwordx4 v[46:49], v[50:51], off offset:-32
	v_lshl_add_u64 v[50:51], s[24:25], 0, v[32:33]
	s_waitcnt vmcnt(1)
	v_mul_f64 v[42:43], v[20:21], v[42:43]
	v_mul_f64 v[44:45], v[22:23], v[44:45]
	v_fma_f64 v[40:41], v[10:11], v[40:41], -v[42:43]
	v_fma_f64 v[38:39], v[8:9], v[38:39], -v[44:45]
	v_mul_f64 v[40:41], v[40:41], s[2:3]
	v_fma_f64 v[38:39], v[38:39], s[28:29], -v[40:41]
	s_waitcnt vmcnt(0)
	v_mul_f64 v[40:41], v[6:7], v[48:49]
	v_fma_f64 v[34:35], v[0:1], v[34:35], -v[40:41]
	v_fmac_f64_e32 v[38:39], s[6:7], v[34:35]
	v_mul_f64 v[34:35], v[4:5], v[46:47]
	v_fma_f64 v[34:35], v[2:3], v[36:37], -v[34:35]
	v_fmac_f64_e32 v[38:39], s[0:1], v[34:35]
	v_mul_f64 v[34:35], v[38:39], -s[22:23]
	v_lshl_add_u64 v[36:37], s[18:19], 0, v[32:33]
	global_store_dwordx2 v[36:37], v[34:35], off
	global_load_dwordx4 v[34:37], v[50:51], off offset:24
	s_nop 0
	global_load_dwordx4 v[38:41], v[50:51], off offset:8
	global_load_dwordx4 v[42:45], v[50:51], off offset:-16
	global_load_dwordx4 v[46:49], v[50:51], off offset:-32
	s_waitcnt vmcnt(1)
	v_mul_f64 v[44:45], v[22:23], v[44:45]
	v_mul_f64 v[22:23], v[22:23], v[30:31]
	v_fma_f64 v[38:39], v[8:9], v[38:39], -v[44:45]
	v_fma_f64 v[8:9], v[8:9], v[24:25], -v[22:23]
	v_mul_f64 v[22:23], v[20:21], v[42:43]
	v_mul_f64 v[20:21], v[20:21], v[28:29]
	v_fma_f64 v[22:23], v[10:11], v[40:41], -v[22:23]
	v_fma_f64 v[10:11], v[10:11], v[26:27], -v[20:21]
	v_add_f64 v[10:11], v[10:11], v[22:23]
	v_add_f64 v[8:9], v[8:9], v[38:39]
	v_mul_f64 v[10:11], v[10:11], s[2:3]
	v_fma_f64 v[8:9], v[8:9], s[28:29], -v[10:11]
	s_waitcnt vmcnt(0)
	v_mul_f64 v[10:11], v[6:7], v[48:49]
	v_mul_f64 v[6:7], v[6:7], v[18:19]
	v_fma_f64 v[10:11], v[0:1], v[34:35], -v[10:11]
	v_fma_f64 v[0:1], v[0:1], v[12:13], -v[6:7]
	v_add_f64 v[0:1], v[0:1], v[10:11]
	v_fmac_f64_e32 v[8:9], s[6:7], v[0:1]
	v_mul_f64 v[0:1], v[4:5], v[46:47]
	v_mul_f64 v[4:5], v[4:5], v[16:17]
	v_fma_f64 v[0:1], v[2:3], v[36:37], -v[0:1]
	v_fma_f64 v[2:3], v[2:3], v[14:15], -v[4:5]
	v_add_f64 v[0:1], v[2:3], v[0:1]
	v_fmac_f64_e32 v[8:9], s[0:1], v[0:1]
	v_mul_f64 v[0:1], v[8:9], -s[22:23]
	v_lshl_add_u64 v[2:3], s[4:5], 0, v[32:33]
	global_store_dwordx2 v[2:3], v[0:1], off
.LBB0_2:
	s_endpgm
	.section	.rodata,"a",@progbits
	.p2align	6, 0x0
	.amdhsa_kernel _Z9hypterm_1PdS_S_S_S_PKdS1_S1_S1_S1_S1_S1_S1_dddiii
		.amdhsa_group_segment_fixed_size 0
		.amdhsa_private_segment_fixed_size 0
		.amdhsa_kernarg_size 400
		.amdhsa_user_sgpr_count 2
		.amdhsa_user_sgpr_dispatch_ptr 0
		.amdhsa_user_sgpr_queue_ptr 0
		.amdhsa_user_sgpr_kernarg_segment_ptr 1
		.amdhsa_user_sgpr_dispatch_id 0
		.amdhsa_user_sgpr_kernarg_preload_length 0
		.amdhsa_user_sgpr_kernarg_preload_offset 0
		.amdhsa_user_sgpr_private_segment_size 0
		.amdhsa_uses_dynamic_stack 0
		.amdhsa_enable_private_segment 0
		.amdhsa_system_sgpr_workgroup_id_x 1
		.amdhsa_system_sgpr_workgroup_id_y 1
		.amdhsa_system_sgpr_workgroup_id_z 1
		.amdhsa_system_sgpr_workgroup_info 0
		.amdhsa_system_vgpr_workitem_id 2
		.amdhsa_next_free_vgpr 52
		.amdhsa_next_free_sgpr 30
		.amdhsa_accum_offset 52
		.amdhsa_reserve_vcc 1
		.amdhsa_float_round_mode_32 0
		.amdhsa_float_round_mode_16_64 0
		.amdhsa_float_denorm_mode_32 3
		.amdhsa_float_denorm_mode_16_64 3
		.amdhsa_dx10_clamp 1
		.amdhsa_ieee_mode 1
		.amdhsa_fp16_overflow 0
		.amdhsa_tg_split 0
		.amdhsa_exception_fp_ieee_invalid_op 0
		.amdhsa_exception_fp_denorm_src 0
		.amdhsa_exception_fp_ieee_div_zero 0
		.amdhsa_exception_fp_ieee_overflow 0
		.amdhsa_exception_fp_ieee_underflow 0
		.amdhsa_exception_fp_ieee_inexact 0
		.amdhsa_exception_int_div_zero 0
	.end_amdhsa_kernel
	.text
.Lfunc_end0:
	.size	_Z9hypterm_1PdS_S_S_S_PKdS1_S1_S1_S1_S1_S1_S1_dddiii, .Lfunc_end0-_Z9hypterm_1PdS_S_S_S_PKdS1_S1_S1_S1_S1_S1_S1_dddiii
                                        ; -- End function
	.set _Z9hypterm_1PdS_S_S_S_PKdS1_S1_S1_S1_S1_S1_S1_dddiii.num_vgpr, 52
	.set _Z9hypterm_1PdS_S_S_S_PKdS1_S1_S1_S1_S1_S1_S1_dddiii.num_agpr, 0
	.set _Z9hypterm_1PdS_S_S_S_PKdS1_S1_S1_S1_S1_S1_S1_dddiii.numbered_sgpr, 30
	.set _Z9hypterm_1PdS_S_S_S_PKdS1_S1_S1_S1_S1_S1_S1_dddiii.num_named_barrier, 0
	.set _Z9hypterm_1PdS_S_S_S_PKdS1_S1_S1_S1_S1_S1_S1_dddiii.private_seg_size, 0
	.set _Z9hypterm_1PdS_S_S_S_PKdS1_S1_S1_S1_S1_S1_S1_dddiii.uses_vcc, 1
	.set _Z9hypterm_1PdS_S_S_S_PKdS1_S1_S1_S1_S1_S1_S1_dddiii.uses_flat_scratch, 0
	.set _Z9hypterm_1PdS_S_S_S_PKdS1_S1_S1_S1_S1_S1_S1_dddiii.has_dyn_sized_stack, 0
	.set _Z9hypterm_1PdS_S_S_S_PKdS1_S1_S1_S1_S1_S1_S1_dddiii.has_recursion, 0
	.set _Z9hypterm_1PdS_S_S_S_PKdS1_S1_S1_S1_S1_S1_S1_dddiii.has_indirect_call, 0
	.section	.AMDGPU.csdata,"",@progbits
; Kernel info:
; codeLenInByte = 1248
; TotalNumSgprs: 36
; NumVgprs: 52
; NumAgprs: 0
; TotalNumVgprs: 52
; ScratchSize: 0
; MemoryBound: 0
; FloatMode: 240
; IeeeMode: 1
; LDSByteSize: 0 bytes/workgroup (compile time only)
; SGPRBlocks: 4
; VGPRBlocks: 6
; NumSGPRsForWavesPerEU: 36
; NumVGPRsForWavesPerEU: 52
; AccumOffset: 52
; Occupancy: 8
; WaveLimiterHint : 0
; COMPUTE_PGM_RSRC2:SCRATCH_EN: 0
; COMPUTE_PGM_RSRC2:USER_SGPR: 2
; COMPUTE_PGM_RSRC2:TRAP_HANDLER: 0
; COMPUTE_PGM_RSRC2:TGID_X_EN: 1
; COMPUTE_PGM_RSRC2:TGID_Y_EN: 1
; COMPUTE_PGM_RSRC2:TGID_Z_EN: 1
; COMPUTE_PGM_RSRC2:TIDIG_COMP_CNT: 2
; COMPUTE_PGM_RSRC3_GFX90A:ACCUM_OFFSET: 12
; COMPUTE_PGM_RSRC3_GFX90A:TG_SPLIT: 0
	.text
	.protected	_Z9hypterm_2PdS_S_S_S_PKdS1_S1_S1_S1_S1_S1_S1_dddiii ; -- Begin function _Z9hypterm_2PdS_S_S_S_PKdS1_S1_S1_S1_S1_S1_S1_dddiii
	.globl	_Z9hypterm_2PdS_S_S_S_PKdS1_S1_S1_S1_S1_S1_S1_dddiii
	.p2align	8
	.type	_Z9hypterm_2PdS_S_S_S_PKdS1_S1_S1_S1_S1_S1_S1_dddiii,@function
_Z9hypterm_2PdS_S_S_S_PKdS1_S1_S1_S1_S1_S1_S1_dddiii: ; @_Z9hypterm_2PdS_S_S_S_PKdS1_S1_S1_S1_S1_S1_S1_dddiii
; %bb.0:
	s_load_dwordx2 s[6:7], s[0:1], 0x9c
	s_load_dwordx2 s[28:29], s[0:1], 0x84
	v_and_b32_e32 v1, 0x3ff, v0
	s_waitcnt lgkmcnt(0)
	s_and_b32 s5, s7, 0xffff
	s_lshr_b32 s7, s6, 16
	s_and_b32 s6, s6, 0xffff
	s_mul_i32 s2, s2, s6
	s_max_i32 s2, s2, 0
	s_mul_i32 s3, s3, s7
	v_add_u32_e32 v2, s2, v1
	s_max_i32 s2, s3, 0
	v_bfe_u32 v1, v0, 10, 10
	s_mul_i32 s4, s4, s5
	v_add_u32_e32 v3, s2, v1
	s_max_i32 s2, s4, 0
	v_bfe_u32 v0, v0, 20, 10
	v_add_u32_e32 v0, s2, v0
	v_min3_u32 v1, v2, v3, v0
	v_cmp_lt_u32_e32 vcc, 3, v1
	s_add_i32 s2, s29, -5
	v_max3_i32 v1, v2, v3, v0
	v_cmp_ge_i32_e64 s[2:3], s2, v1
	s_and_b64 s[2:3], s[2:3], vcc
	s_and_saveexec_b64 s[4:5], s[2:3]
	s_cbranch_execz .LBB1_2
; %bb.1:
	v_mul_lo_u32 v52, v0, s28
	v_add_u32_e32 v20, v52, v3
	v_mad_u64_u32 v[0:1], s[24:25], v20, s29, v[2:3]
	s_load_dwordx4 s[20:23], s[0:1], 0x50
	s_load_dwordx2 s[2:3], s[0:1], 0x40
	s_load_dwordx8 s[12:19], s[0:1], 0x0
	s_load_dwordx8 s[4:11], s[0:1], 0x20
	v_add_u32_e32 v1, -1, v20
	v_mad_u64_u32 v[6:7], s[24:25], v1, s29, v[2:3]
	v_add_u32_e32 v1, 2, v20
	v_add_u32_e32 v4, s29, v0
	v_mad_u64_u32 v[8:9], s[24:25], v1, s29, v[2:3]
	v_add_u32_e32 v1, -2, v20
	v_ashrrev_i32_e32 v5, 31, v4
	v_mad_u64_u32 v[10:11], s[24:25], v1, s29, v[2:3]
	v_lshlrev_b64 v[4:5], 3, v[4:5]
	v_ashrrev_i32_e32 v7, 31, v6
	v_ashrrev_i32_e32 v9, 31, v8
	;; [unrolled: 1-line block ×3, first 2 shown]
	s_waitcnt lgkmcnt(0)
	v_lshl_add_u64 v[12:13], s[8:9], 0, v[4:5]
	v_lshlrev_b64 v[6:7], 3, v[6:7]
	v_lshlrev_b64 v[8:9], 3, v[8:9]
	;; [unrolled: 1-line block ×3, first 2 shown]
	v_add_u32_e32 v1, 3, v20
	v_lshl_add_u64 v[14:15], s[8:9], 0, v[6:7]
	v_lshl_add_u64 v[16:17], s[8:9], 0, v[8:9]
	;; [unrolled: 1-line block ×3, first 2 shown]
	global_load_dwordx2 v[36:37], v[12:13], off
	global_load_dwordx2 v[38:39], v[14:15], off
	;; [unrolled: 1-line block ×4, first 2 shown]
	v_mad_u64_u32 v[12:13], s[24:25], v1, s29, v[2:3]
	v_add_u32_e32 v1, -3, v20
	v_mad_u64_u32 v[14:15], s[24:25], v1, s29, v[2:3]
	v_add_u32_e32 v1, 4, v20
	v_mad_u64_u32 v[16:17], s[24:25], v1, s29, v[2:3]
	v_ashrrev_i32_e32 v17, 31, v16
	v_add_u32_e32 v1, -4, v20
	v_ashrrev_i32_e32 v13, 31, v12
	v_ashrrev_i32_e32 v15, 31, v14
	v_lshlrev_b64 v[24:25], 3, v[16:17]
	v_mad_u64_u32 v[16:17], s[24:25], v1, s29, v[2:3]
	v_lshlrev_b64 v[12:13], 3, v[12:13]
	v_lshlrev_b64 v[14:15], 3, v[14:15]
	v_ashrrev_i32_e32 v17, 31, v16
	v_lshl_add_u64 v[28:29], s[8:9], 0, v[12:13]
	v_lshl_add_u64 v[34:35], s[8:9], 0, v[14:15]
	v_lshlrev_b64 v[26:27], 3, v[16:17]
	v_ashrrev_i32_e32 v1, 31, v0
	v_lshl_add_u64 v[40:41], s[8:9], 0, v[24:25]
	v_lshl_add_u64 v[42:43], s[8:9], 0, v[26:27]
	global_load_dwordx2 v[20:21], v[28:29], off
	global_load_dwordx2 v[22:23], v[34:35], off
	;; [unrolled: 1-line block ×4, first 2 shown]
	v_lshl_add_u64 v[28:29], s[6:7], 0, v[6:7]
	v_lshlrev_b64 v[0:1], 3, v[0:1]
	v_lshl_add_u64 v[34:35], s[6:7], 0, v[4:5]
	global_load_dwordx2 v[40:41], v[28:29], off
	global_load_dwordx2 v[46:47], v[34:35], off
	v_lshl_add_u64 v[28:29], s[20:21], 0, v[6:7]
	v_lshl_add_u64 v[42:43], s[12:13], 0, v[0:1]
	global_load_dwordx2 v[28:29], v[28:29], off
	v_lshl_add_u64 v[34:35], s[20:21], 0, v[4:5]
	global_load_dwordx2 v[44:45], v[42:43], off
	s_brev_b32 s30, 5
	global_load_dwordx2 v[34:35], v[34:35], off
	s_load_dwordx4 s[24:27], s[0:1], 0x70
	s_mov_b32 s31, 0x3fc99999
	s_mov_b32 s35, 0x3fe99999
	s_brev_b32 s12, 6
	s_mov_b32 s34, s30
	s_mov_b32 s13, 0x3fa374bc
	s_mov_b32 s8, 2.0
	s_mov_b32 s9, 0xbf6cac08
	v_lshl_add_u64 v[62:63], s[20:21], 0, v[14:15]
	v_lshl_add_u64 v[58:59], s[20:21], 0, v[12:13]
	s_load_dwordx2 s[0:1], s[0:1], 0x60
	s_waitcnt vmcnt(11)
	v_add_f64 v[48:49], v[36:37], -v[38:39]
	s_waitcnt vmcnt(9)
	v_add_f64 v[50:51], v[30:31], -v[32:33]
	v_mul_f64 v[50:51], v[50:51], s[30:31]
	v_fma_f64 v[48:49], v[48:49], s[34:35], -v[50:51]
	s_waitcnt vmcnt(7)
	v_add_f64 v[54:55], v[20:21], -v[22:23]
	v_fmac_f64_e32 v[48:49], s[12:13], v[54:55]
	s_waitcnt vmcnt(5)
	v_add_f64 v[56:57], v[16:17], -v[18:19]
	v_fmac_f64_e32 v[48:49], s[8:9], v[56:57]
	s_waitcnt vmcnt(2)
	v_mul_f64 v[40:41], v[40:41], v[28:29]
	v_mul_f64 v[38:39], v[38:39], v[28:29]
	s_waitcnt vmcnt(1) lgkmcnt(0)
	v_fma_f64 v[44:45], -s[24:25], v[48:49], v[44:45]
	global_store_dwordx2 v[42:43], v[44:45], off
	s_waitcnt vmcnt(1)
	v_fma_f64 v[48:49], v[46:47], v[34:35], -v[40:41]
	v_lshl_add_u64 v[40:41], s[6:7], 0, v[8:9]
	v_lshl_add_u64 v[42:43], s[6:7], 0, v[10:11]
	;; [unrolled: 1-line block ×3, first 2 shown]
	global_load_dwordx2 v[50:51], v[40:41], off
	global_load_dwordx2 v[54:55], v[42:43], off
	global_load_dwordx2 v[56:57], v[44:45], off
	v_lshl_add_u64 v[40:41], s[20:21], 0, v[8:9]
	v_lshl_add_u64 v[42:43], s[20:21], 0, v[10:11]
	global_load_dwordx2 v[40:41], v[40:41], off
	v_lshl_add_u64 v[44:45], s[6:7], 0, v[14:15]
	global_load_dwordx2 v[42:43], v[42:43], off
	v_fma_f64 v[36:37], v[36:37], v[34:35], -v[38:39]
	global_load_dwordx2 v[60:61], v[44:45], off
	global_load_dwordx2 v[46:47], v[62:63], off
	s_nop 0
	global_load_dwordx2 v[44:45], v[58:59], off
	v_lshl_add_u64 v[62:63], s[20:21], 0, v[26:27]
	v_lshl_add_u64 v[58:59], s[20:21], 0, v[24:25]
	;; [unrolled: 1-line block ×4, first 2 shown]
	s_waitcnt vmcnt(3)
	v_mul_f64 v[54:55], v[54:55], v[42:43]
	v_fma_f64 v[50:51], v[50:51], v[40:41], -v[54:55]
	v_mul_f64 v[50:51], v[50:51], s[30:31]
	v_fma_f64 v[54:55], v[48:49], s[34:35], -v[50:51]
	s_waitcnt vmcnt(1)
	v_mul_f64 v[48:49], v[60:61], v[46:47]
	s_waitcnt vmcnt(0)
	v_fma_f64 v[48:49], v[56:57], v[44:45], -v[48:49]
	v_fmac_f64_e32 v[54:55], s[12:13], v[48:49]
	v_lshl_add_u64 v[48:49], s[6:7], 0, v[24:25]
	global_load_dwordx2 v[56:57], v[48:49], off
	v_lshl_add_u64 v[48:49], s[6:7], 0, v[26:27]
	global_load_dwordx2 v[60:61], v[48:49], off
	global_load_dwordx2 v[50:51], v[62:63], off
	s_nop 0
	global_load_dwordx2 v[48:49], v[58:59], off
	v_mul_f64 v[32:33], v[32:33], v[42:43]
	v_fma_f64 v[30:31], v[30:31], v[40:41], -v[32:33]
	s_waitcnt vmcnt(1)
	v_mul_f64 v[58:59], v[60:61], v[50:51]
	s_waitcnt vmcnt(0)
	v_fma_f64 v[56:57], v[56:57], v[48:49], -v[58:59]
	v_fmac_f64_e32 v[54:55], s[8:9], v[56:57]
	v_lshl_add_u64 v[56:57], s[14:15], 0, v[0:1]
	global_load_dwordx2 v[58:59], v[56:57], off
	s_waitcnt vmcnt(0)
	v_fma_f64 v[54:55], -s[24:25], v[54:55], v[58:59]
	global_store_dwordx2 v[56:57], v[54:55], off
	v_lshl_add_u64 v[54:55], s[0:1], 0, v[6:7]
	global_load_dwordx2 v[56:57], v[38:39], off
	global_load_dwordx2 v[58:59], v[54:55], off
	v_lshl_add_u64 v[38:39], s[0:1], 0, v[8:9]
	v_lshl_add_u64 v[54:55], s[0:1], 0, v[10:11]
	global_load_dwordx2 v[60:61], v[38:39], off
	global_load_dwordx2 v[62:63], v[54:55], off
	v_lshl_add_u64 v[54:55], s[0:1], 0, v[26:27]
	v_lshl_add_u64 v[6:7], s[10:11], 0, v[6:7]
	;; [unrolled: 1-line block ×4, first 2 shown]
	s_waitcnt vmcnt(2)
	v_add_f64 v[38:39], v[56:57], -v[58:59]
	v_add_f64 v[36:37], v[36:37], v[38:39]
	v_lshl_add_u64 v[38:39], s[0:1], 0, v[24:25]
	s_waitcnt vmcnt(0)
	v_add_f64 v[32:33], v[60:61], -v[62:63]
	v_add_f64 v[30:31], v[30:31], v[32:33]
	v_mul_f64 v[30:31], v[30:31], s[30:31]
	v_lshl_add_u64 v[32:33], s[0:1], 0, v[12:13]
	v_fma_f64 v[30:31], v[36:37], s[34:35], -v[30:31]
	v_lshl_add_u64 v[36:37], s[0:1], 0, v[14:15]
	global_load_dwordx2 v[56:57], v[32:33], off
	global_load_dwordx2 v[58:59], v[36:37], off
	;; [unrolled: 1-line block ×4, first 2 shown]
	v_lshl_add_u64 v[32:33], s[16:17], 0, v[0:1]
	global_load_dwordx2 v[36:37], v[32:33], off
	global_load_dwordx2 v[38:39], v[4:5], off
	;; [unrolled: 1-line block ×3, first 2 shown]
                                        ; kill: killed $vgpr6_vgpr7
                                        ; kill: killed $vgpr4_vgpr5
	s_nop 0
	global_load_dwordx2 v[4:5], v[8:9], off
	global_load_dwordx2 v[6:7], v[10:11], off
	v_lshl_add_u64 v[8:9], s[10:11], 0, v[12:13]
	v_lshl_add_u64 v[10:11], s[10:11], 0, v[14:15]
	v_lshl_add_u64 v[12:13], s[10:11], 0, v[24:25]
	v_lshl_add_u64 v[14:15], s[10:11], 0, v[26:27]
	global_load_dwordx2 v[24:25], v[10:11], off
	global_load_dwordx2 v[26:27], v[8:9], off
                                        ; kill: killed $vgpr10_vgpr11
                                        ; kill: killed $vgpr8_vgpr9
	s_nop 0
	global_load_dwordx2 v[8:9], v[14:15], off
	global_load_dwordx2 v[10:11], v[12:13], off
	v_mul_f64 v[12:13], v[22:23], v[46:47]
	v_fma_f64 v[12:13], v[20:21], v[44:45], -v[12:13]
	s_waitcnt vmcnt(11)
	v_add_f64 v[14:15], v[56:57], -v[58:59]
	v_add_f64 v[12:13], v[12:13], v[14:15]
	v_fmac_f64_e32 v[30:31], s[12:13], v[12:13]
	v_mul_f64 v[12:13], v[18:19], v[50:51]
	v_fma_f64 v[12:13], v[16:17], v[48:49], -v[12:13]
	s_waitcnt vmcnt(9)
	v_add_f64 v[14:15], v[60:61], -v[62:63]
	v_add_u32_e32 v18, s28, v52
	v_add_f64 v[12:13], v[12:13], v[14:15]
	v_add_u32_e32 v14, v18, v3
	v_mad_u64_u32 v[14:15], s[6:7], v14, s29, v[2:3]
	s_waitcnt vmcnt(4)
	v_mul_f64 v[6:7], v[42:43], v[6:7]
	s_lshl_b32 s6, s28, 1
	v_fmac_f64_e32 v[30:31], s[8:9], v[12:13]
	v_fma_f64 v[4:5], v[40:41], v[4:5], -v[6:7]
	s_waitcnt vmcnt(3)
	v_mul_f64 v[6:7], v[46:47], v[24:25]
	v_subrev_u32_e32 v24, s6, v18
	v_fma_f64 v[12:13], -s[24:25], v[30:31], v[36:37]
	v_add_u32_e32 v18, v24, v3
	global_store_dwordx2 v[32:33], v[12:13], off
	v_mul_f64 v[12:13], v[28:29], v[54:55]
	v_mad_u64_u32 v[18:19], s[6:7], v18, s29, v[2:3]
	v_fma_f64 v[12:13], v[34:35], v[38:39], -v[12:13]
	v_mul_f64 v[4:5], v[4:5], s[30:31]
	v_ashrrev_i32_e32 v15, 31, v14
	v_ashrrev_i32_e32 v19, 31, v18
	v_fma_f64 v[4:5], v[12:13], s[34:35], -v[4:5]
	s_waitcnt vmcnt(3)
	v_fma_f64 v[12:13], v[44:45], v[26:27], -v[6:7]
	v_lshlrev_b64 v[22:23], 3, v[14:15]
	v_lshlrev_b64 v[26:27], 3, v[18:19]
	v_mad_u64_u32 v[24:25], s[6:7], s28, 3, v[24:25]
	s_waitcnt vmcnt(2)
	v_mul_f64 v[6:7], v[50:51], v[8:9]
	v_lshl_add_u64 v[8:9], s[18:19], 0, v[0:1]
	v_lshl_add_u64 v[14:15], s[2:3], 0, v[22:23]
	v_lshl_add_u64 v[16:17], s[22:23], 0, v[22:23]
	v_lshl_add_u64 v[18:19], s[2:3], 0, v[26:27]
	v_lshl_add_u64 v[20:21], s[22:23], 0, v[26:27]
	v_lshl_add_u64 v[28:29], s[0:1], 0, v[22:23]
	v_lshl_add_u64 v[26:27], s[0:1], 0, v[26:27]
	v_add_u32_e32 v25, v24, v3
	s_waitcnt vmcnt(1)
	v_fma_f64 v[6:7], v[48:49], v[10:11], -v[6:7]
	global_load_dwordx2 v[10:11], v[8:9], off
	v_lshl_add_u64 v[0:1], s[4:5], 0, v[0:1]
	global_load_dwordx2 v[14:15], v[14:15], off
	v_fmac_f64_e32 v[4:5], s[12:13], v[12:13]
	global_load_dwordx2 v[16:17], v[16:17], off
	v_fmac_f64_e32 v[4:5], s[8:9], v[6:7]
	global_load_dwordx2 v[18:19], v[18:19], off
	s_waitcnt vmcnt(3)
	v_fma_f64 v[4:5], -s[24:25], v[4:5], v[10:11]
	global_load_dwordx2 v[20:21], v[20:21], off
	s_nop 0
	global_load_dwordx2 v[22:23], v[28:29], off
	global_load_dwordx2 v[30:31], v[26:27], off
	v_mad_u64_u32 v[26:27], s[6:7], v25, s29, v[2:3]
	s_lshl_b32 s6, s28, 2
	s_nop 0
	v_subrev_u32_e32 v24, s6, v24
	v_add_u32_e32 v25, v24, v3
	v_mad_u64_u32 v[34:35], s[6:7], v25, s29, v[2:3]
	v_ashrrev_i32_e32 v27, 31, v26
	v_ashrrev_i32_e32 v35, 31, v34
	v_lshlrev_b64 v[26:27], 3, v[26:27]
	v_lshlrev_b64 v[34:35], 3, v[34:35]
	v_mad_u64_u32 v[24:25], s[6:7], s28, 5, v[24:25]
	v_lshl_add_u64 v[28:29], s[2:3], 0, v[26:27]
	v_lshl_add_u64 v[32:33], s[22:23], 0, v[26:27]
	;; [unrolled: 1-line block ×5, first 2 shown]
	v_add_u32_e32 v25, v24, v3
	global_load_dwordx2 v[28:29], v[28:29], off
	v_lshl_add_u64 v[34:35], s[0:1], 0, v[34:35]
	global_load_dwordx2 v[32:33], v[32:33], off
	s_waitcnt vmcnt(2)
	v_mul_f64 v[6:7], v[20:21], v[30:31]
	global_load_dwordx2 v[36:37], v[36:37], off
	v_fma_f64 v[6:7], v[16:17], v[22:23], -v[6:7]
	global_load_dwordx2 v[38:39], v[38:39], off
	s_nop 0
	global_load_dwordx2 v[40:41], v[26:27], off
	global_load_dwordx2 v[42:43], v[34:35], off
	v_mad_u64_u32 v[26:27], s[6:7], v25, s29, v[2:3]
	v_mad_u64_u32 v[24:25], s[6:7], s28, -6, v[24:25]
	v_add_u32_e32 v25, v24, v3
	v_mad_u64_u32 v[46:47], s[6:7], v25, s29, v[2:3]
	v_ashrrev_i32_e32 v27, 31, v26
	v_ashrrev_i32_e32 v47, 31, v46
	v_lshlrev_b64 v[26:27], 3, v[26:27]
	v_lshlrev_b64 v[46:47], 3, v[46:47]
	v_mad_u64_u32 v[24:25], s[6:7], s28, 7, v[24:25]
	v_lshl_add_u64 v[34:35], s[2:3], 0, v[26:27]
	v_lshl_add_u64 v[44:45], s[22:23], 0, v[26:27]
	;; [unrolled: 1-line block ×5, first 2 shown]
	v_add_u32_e32 v25, v24, v3
	global_load_dwordx2 v[34:35], v[34:35], off
	v_lshl_add_u64 v[46:47], s[0:1], 0, v[46:47]
	global_load_dwordx2 v[44:45], v[44:45], off
	s_nop 0
	global_load_dwordx2 v[48:49], v[48:49], off
	s_nop 0
	;; [unrolled: 2-line block ×3, first 2 shown]
	global_load_dwordx2 v[52:53], v[26:27], off
	global_load_dwordx2 v[54:55], v[46:47], off
	v_mad_u64_u32 v[26:27], s[6:7], v25, s29, v[2:3]
	s_lshl_b32 s6, s28, 3
	s_nop 0
	v_subrev_u32_e32 v24, s6, v24
	v_add_u32_e32 v3, v24, v3
	v_mad_u64_u32 v[2:3], s[6:7], v3, s29, v[2:3]
	v_ashrrev_i32_e32 v27, 31, v26
	v_ashrrev_i32_e32 v3, 31, v2
	v_lshlrev_b64 v[26:27], 3, v[26:27]
	v_lshlrev_b64 v[2:3], 3, v[2:3]
	v_lshl_add_u64 v[46:47], s[2:3], 0, v[26:27]
	v_lshl_add_u64 v[56:57], s[22:23], 0, v[26:27]
	;; [unrolled: 1-line block ×4, first 2 shown]
	global_load_dwordx2 v[46:47], v[46:47], off
	v_lshl_add_u64 v[2:3], s[0:1], 0, v[2:3]
	global_load_dwordx2 v[56:57], v[56:57], off
	v_lshl_add_u64 v[26:27], s[0:1], 0, v[26:27]
	global_load_dwordx2 v[24:25], v[24:25], off
	s_nop 0
	global_load_dwordx2 v[58:59], v[58:59], off
	s_nop 0
	global_load_dwordx2 v[60:61], v[2:3], off
	global_load_dwordx2 v[62:63], v[26:27], off
	s_nop 0
	global_load_dwordx2 v[2:3], v[0:1], off
	s_nop 0
	global_store_dwordx2 v[8:9], v[4:5], off
	v_mul_f64 v[4:5], v[18:19], v[20:21]
	v_fma_f64 v[4:5], v[14:15], v[16:17], -v[4:5]
	v_add_f64 v[4:5], v[4:5], v[6:7]
	s_waitcnt vmcnt(16)
	v_mul_f64 v[6:7], v[36:37], v[38:39]
	s_waitcnt vmcnt(14)
	v_mul_f64 v[8:9], v[38:39], v[42:43]
	v_fma_f64 v[6:7], v[28:29], v[32:33], -v[6:7]
	v_fma_f64 v[8:9], v[32:33], v[40:41], -v[8:9]
	v_add_f64 v[6:7], v[6:7], v[8:9]
	v_mul_f64 v[6:7], v[6:7], s[30:31]
	v_fma_f64 v[4:5], v[4:5], s[34:35], -v[6:7]
	s_waitcnt vmcnt(10)
	v_mul_f64 v[6:7], v[48:49], v[50:51]
	s_waitcnt vmcnt(8)
	v_mul_f64 v[8:9], v[50:51], v[54:55]
	v_fma_f64 v[6:7], v[34:35], v[44:45], -v[6:7]
	v_fma_f64 v[8:9], v[44:45], v[52:53], -v[8:9]
	v_add_f64 v[6:7], v[6:7], v[8:9]
	v_fmac_f64_e32 v[4:5], s[12:13], v[6:7]
	s_waitcnt vmcnt(4)
	v_mul_f64 v[6:7], v[24:25], v[58:59]
	s_waitcnt vmcnt(3)
	v_mul_f64 v[8:9], v[58:59], v[60:61]
	v_fma_f64 v[6:7], v[46:47], v[56:57], -v[6:7]
	s_waitcnt vmcnt(2)
	v_fma_f64 v[8:9], v[56:57], v[62:63], -v[8:9]
	v_add_f64 v[6:7], v[6:7], v[8:9]
	v_fmac_f64_e32 v[4:5], s[8:9], v[6:7]
	s_waitcnt vmcnt(1)
	v_fma_f64 v[2:3], -s[26:27], v[4:5], v[2:3]
	global_store_dwordx2 v[0:1], v[2:3], off
.LBB1_2:
	s_endpgm
	.section	.rodata,"a",@progbits
	.p2align	6, 0x0
	.amdhsa_kernel _Z9hypterm_2PdS_S_S_S_PKdS1_S1_S1_S1_S1_S1_S1_dddiii
		.amdhsa_group_segment_fixed_size 0
		.amdhsa_private_segment_fixed_size 0
		.amdhsa_kernarg_size 400
		.amdhsa_user_sgpr_count 2
		.amdhsa_user_sgpr_dispatch_ptr 0
		.amdhsa_user_sgpr_queue_ptr 0
		.amdhsa_user_sgpr_kernarg_segment_ptr 1
		.amdhsa_user_sgpr_dispatch_id 0
		.amdhsa_user_sgpr_kernarg_preload_length 0
		.amdhsa_user_sgpr_kernarg_preload_offset 0
		.amdhsa_user_sgpr_private_segment_size 0
		.amdhsa_uses_dynamic_stack 0
		.amdhsa_enable_private_segment 0
		.amdhsa_system_sgpr_workgroup_id_x 1
		.amdhsa_system_sgpr_workgroup_id_y 1
		.amdhsa_system_sgpr_workgroup_id_z 1
		.amdhsa_system_sgpr_workgroup_info 0
		.amdhsa_system_vgpr_workitem_id 2
		.amdhsa_next_free_vgpr 64
		.amdhsa_next_free_sgpr 36
		.amdhsa_accum_offset 64
		.amdhsa_reserve_vcc 1
		.amdhsa_float_round_mode_32 0
		.amdhsa_float_round_mode_16_64 0
		.amdhsa_float_denorm_mode_32 3
		.amdhsa_float_denorm_mode_16_64 3
		.amdhsa_dx10_clamp 1
		.amdhsa_ieee_mode 1
		.amdhsa_fp16_overflow 0
		.amdhsa_tg_split 0
		.amdhsa_exception_fp_ieee_invalid_op 0
		.amdhsa_exception_fp_denorm_src 0
		.amdhsa_exception_fp_ieee_div_zero 0
		.amdhsa_exception_fp_ieee_overflow 0
		.amdhsa_exception_fp_ieee_underflow 0
		.amdhsa_exception_fp_ieee_inexact 0
		.amdhsa_exception_int_div_zero 0
	.end_amdhsa_kernel
	.text
.Lfunc_end1:
	.size	_Z9hypterm_2PdS_S_S_S_PKdS1_S1_S1_S1_S1_S1_S1_dddiii, .Lfunc_end1-_Z9hypterm_2PdS_S_S_S_PKdS1_S1_S1_S1_S1_S1_S1_dddiii
                                        ; -- End function
	.set _Z9hypterm_2PdS_S_S_S_PKdS1_S1_S1_S1_S1_S1_S1_dddiii.num_vgpr, 64
	.set _Z9hypterm_2PdS_S_S_S_PKdS1_S1_S1_S1_S1_S1_S1_dddiii.num_agpr, 0
	.set _Z9hypterm_2PdS_S_S_S_PKdS1_S1_S1_S1_S1_S1_S1_dddiii.numbered_sgpr, 36
	.set _Z9hypterm_2PdS_S_S_S_PKdS1_S1_S1_S1_S1_S1_S1_dddiii.num_named_barrier, 0
	.set _Z9hypterm_2PdS_S_S_S_PKdS1_S1_S1_S1_S1_S1_S1_dddiii.private_seg_size, 0
	.set _Z9hypterm_2PdS_S_S_S_PKdS1_S1_S1_S1_S1_S1_S1_dddiii.uses_vcc, 1
	.set _Z9hypterm_2PdS_S_S_S_PKdS1_S1_S1_S1_S1_S1_S1_dddiii.uses_flat_scratch, 0
	.set _Z9hypterm_2PdS_S_S_S_PKdS1_S1_S1_S1_S1_S1_S1_dddiii.has_dyn_sized_stack, 0
	.set _Z9hypterm_2PdS_S_S_S_PKdS1_S1_S1_S1_S1_S1_S1_dddiii.has_recursion, 0
	.set _Z9hypterm_2PdS_S_S_S_PKdS1_S1_S1_S1_S1_S1_S1_dddiii.has_indirect_call, 0
	.section	.AMDGPU.csdata,"",@progbits
; Kernel info:
; codeLenInByte = 2656
; TotalNumSgprs: 42
; NumVgprs: 64
; NumAgprs: 0
; TotalNumVgprs: 64
; ScratchSize: 0
; MemoryBound: 0
; FloatMode: 240
; IeeeMode: 1
; LDSByteSize: 0 bytes/workgroup (compile time only)
; SGPRBlocks: 5
; VGPRBlocks: 7
; NumSGPRsForWavesPerEU: 42
; NumVGPRsForWavesPerEU: 64
; AccumOffset: 64
; Occupancy: 8
; WaveLimiterHint : 0
; COMPUTE_PGM_RSRC2:SCRATCH_EN: 0
; COMPUTE_PGM_RSRC2:USER_SGPR: 2
; COMPUTE_PGM_RSRC2:TRAP_HANDLER: 0
; COMPUTE_PGM_RSRC2:TGID_X_EN: 1
; COMPUTE_PGM_RSRC2:TGID_Y_EN: 1
; COMPUTE_PGM_RSRC2:TGID_Z_EN: 1
; COMPUTE_PGM_RSRC2:TIDIG_COMP_CNT: 2
; COMPUTE_PGM_RSRC3_GFX90A:ACCUM_OFFSET: 15
; COMPUTE_PGM_RSRC3_GFX90A:TG_SPLIT: 0
	.text
	.protected	_Z9hypterm_3PdS_S_S_S_PKdS1_S1_S1_S1_S1_S1_S1_dddiii ; -- Begin function _Z9hypterm_3PdS_S_S_S_PKdS1_S1_S1_S1_S1_S1_S1_dddiii
	.globl	_Z9hypterm_3PdS_S_S_S_PKdS1_S1_S1_S1_S1_S1_S1_dddiii
	.p2align	8
	.type	_Z9hypterm_3PdS_S_S_S_PKdS1_S1_S1_S1_S1_S1_S1_dddiii,@function
_Z9hypterm_3PdS_S_S_S_PKdS1_S1_S1_S1_S1_S1_S1_dddiii: ; @_Z9hypterm_3PdS_S_S_S_PKdS1_S1_S1_S1_S1_S1_S1_dddiii
; %bb.0:
	s_load_dwordx2 s[6:7], s[0:1], 0x9c
	s_load_dwordx2 s[28:29], s[0:1], 0x84
	v_and_b32_e32 v1, 0x3ff, v0
	s_waitcnt lgkmcnt(0)
	s_and_b32 s5, s7, 0xffff
	s_lshr_b32 s7, s6, 16
	s_and_b32 s6, s6, 0xffff
	s_mul_i32 s2, s2, s6
	s_max_i32 s2, s2, 0
	s_mul_i32 s3, s3, s7
	v_add_u32_e32 v2, s2, v1
	s_max_i32 s2, s3, 0
	v_bfe_u32 v1, v0, 10, 10
	s_mul_i32 s4, s4, s5
	v_add_u32_e32 v1, s2, v1
	s_max_i32 s2, s4, 0
	v_bfe_u32 v0, v0, 20, 10
	v_add_u32_e32 v0, s2, v0
	v_min3_u32 v3, v2, v1, v0
	v_cmp_lt_u32_e32 vcc, 3, v3
	s_add_i32 s2, s29, -5
	v_max3_i32 v3, v2, v1, v0
	v_cmp_ge_i32_e64 s[2:3], s2, v3
	s_and_b64 s[2:3], s[2:3], vcc
	s_and_saveexec_b64 s[4:5], s[2:3]
	s_cbranch_execz .LBB2_2
; %bb.1:
	v_mul_lo_u32 v3, v0, s28
	v_add_u32_e32 v0, s28, v3
	v_add_u32_e32 v4, v0, v1
	s_load_dwordx2 s[2:3], s[0:1], 0x60
	s_load_dwordx4 s[24:27], s[0:1], 0x50
	s_load_dwordx2 s[30:31], s[0:1], 0x40
	s_load_dwordx8 s[12:19], s[0:1], 0x0
	s_load_dwordx8 s[4:11], s[0:1], 0x20
	s_load_dwordx4 s[20:23], s[0:1], 0x70
	v_mad_u64_u32 v[4:5], s[0:1], v4, s29, v[2:3]
	s_lshl_b32 s0, s28, 1
	s_nop 0
	v_subrev_u32_e32 v0, s0, v0
	v_add_u32_e32 v8, v0, v1
	v_mad_u64_u32 v[8:9], s[0:1], v8, s29, v[2:3]
	v_ashrrev_i32_e32 v5, 31, v4
	v_ashrrev_i32_e32 v9, 31, v8
	v_lshlrev_b64 v[4:5], 3, v[4:5]
	v_lshlrev_b64 v[8:9], 3, v[8:9]
	v_mad_u64_u32 v[14:15], s[0:1], s28, 3, v[0:1]
	s_waitcnt lgkmcnt(0)
	v_lshl_add_u64 v[6:7], s[10:11], 0, v[4:5]
	v_lshl_add_u64 v[10:11], s[10:11], 0, v[8:9]
	v_add_u32_e32 v0, v14, v1
	global_load_dwordx2 v[6:7], v[6:7], off
	s_brev_b32 s36, 5
	global_load_dwordx2 v[16:17], v[10:11], off
	v_mad_u64_u32 v[10:11], s[0:1], v0, s29, v[2:3]
	s_lshl_b32 s0, s28, 2
	s_nop 0
	v_subrev_u32_e32 v0, s0, v14
	v_add_u32_e32 v14, v0, v1
	v_mad_u64_u32 v[14:15], s[0:1], v14, s29, v[2:3]
	v_ashrrev_i32_e32 v11, 31, v10
	v_ashrrev_i32_e32 v15, 31, v14
	v_lshlrev_b64 v[10:11], 3, v[10:11]
	v_lshlrev_b64 v[14:15], 3, v[14:15]
	v_lshl_add_u64 v[12:13], s[10:11], 0, v[10:11]
	v_lshl_add_u64 v[18:19], s[10:11], 0, v[14:15]
	global_load_dwordx2 v[12:13], v[12:13], off
	s_mov_b32 s37, 0x3fc99999
	global_load_dwordx2 v[18:19], v[18:19], off
	s_mov_b32 s39, 0x3fe99999
	s_mov_b32 s38, s36
	s_brev_b32 s34, 6
	s_mov_b32 s35, 0x3fa374bc
	v_lshl_add_u64 v[44:45], s[26:27], 0, v[8:9]
	global_load_dwordx2 v[44:45], v[44:45], off
	v_lshl_add_u64 v[46:47], s[26:27], 0, v[10:11]
	global_load_dwordx2 v[46:47], v[46:47], off
	v_lshl_add_u64 v[48:49], s[6:7], 0, v[14:15]
	v_lshl_add_u64 v[50:51], s[26:27], 0, v[14:15]
	global_load_dwordx2 v[48:49], v[48:49], off
	s_waitcnt vmcnt(5)
	v_add_f64 v[20:21], v[6:7], -v[16:17]
	global_load_dwordx2 v[50:51], v[50:51], off
	s_waitcnt vmcnt(4)
	v_add_f64 v[22:23], v[12:13], -v[18:19]
	v_mul_f64 v[22:23], v[22:23], s[36:37]
	v_fma_f64 v[38:39], v[20:21], s[38:39], -v[22:23]
	v_mad_u64_u32 v[22:23], s[0:1], s28, 5, v[0:1]
	v_add_u32_e32 v0, v22, v1
	v_mad_u64_u32 v[26:27], s[0:1], s28, -6, v[22:23]
	v_mad_u64_u32 v[20:21], s[0:1], v0, s29, v[2:3]
	v_add_u32_e32 v0, v26, v1
	v_mad_u64_u32 v[22:23], s[0:1], v0, s29, v[2:3]
	v_ashrrev_i32_e32 v21, 31, v20
	v_ashrrev_i32_e32 v23, 31, v22
	v_lshlrev_b64 v[20:21], 3, v[20:21]
	v_lshlrev_b64 v[22:23], 3, v[22:23]
	v_lshl_add_u64 v[24:25], s[10:11], 0, v[20:21]
	v_lshl_add_u64 v[28:29], s[10:11], 0, v[22:23]
	global_load_dwordx2 v[24:25], v[24:25], off
	v_mad_u64_u32 v[26:27], s[0:1], s28, 7, v[26:27]
	global_load_dwordx2 v[30:31], v[28:29], off
	v_add_u32_e32 v0, v26, v1
	v_lshl_add_u64 v[52:53], s[6:7], 0, v[22:23]
	v_lshl_add_u64 v[54:55], s[26:27], 0, v[22:23]
	global_load_dwordx2 v[52:53], v[52:53], off
	s_waitcnt vmcnt(6)
	v_mul_f64 v[16:17], v[16:17], v[44:45]
	global_load_dwordx2 v[54:55], v[54:55], off
	s_waitcnt vmcnt(4)
	v_mul_f64 v[48:49], v[48:49], v[50:51]
	s_waitcnt vmcnt(2)
	v_add_f64 v[28:29], v[24:25], -v[30:31]
	v_fmac_f64_e32 v[38:39], s[34:35], v[28:29]
	v_mad_u64_u32 v[28:29], s[0:1], v0, s29, v[2:3]
	s_lshl_b32 s0, s28, 3
	s_nop 0
	v_subrev_u32_e32 v0, s0, v26
	v_ashrrev_i32_e32 v29, 31, v28
	v_add_u32_e32 v0, v0, v1
	v_lshlrev_b64 v[28:29], 3, v[28:29]
	v_mad_u64_u32 v[26:27], s[0:1], v0, s29, v[2:3]
	v_lshl_add_u64 v[32:33], s[10:11], 0, v[28:29]
	v_ashrrev_i32_e32 v27, 31, v26
	global_load_dwordx2 v[34:35], v[32:33], off
	v_lshlrev_b64 v[32:33], 3, v[26:27]
	v_lshl_add_u64 v[26:27], s[10:11], 0, v[32:33]
	global_load_dwordx2 v[36:37], v[26:27], off
	s_mov_b32 s0, 2.0
	s_mov_b32 s1, 0xbf6cac08
	v_add_u32_e32 v3, v3, v1
	s_waitcnt vmcnt(2)
	v_mul_f64 v[52:53], v[52:53], v[54:55]
	v_lshl_add_u64 v[56:57], s[6:7], 0, v[32:33]
	v_lshl_add_u64 v[58:59], s[26:27], 0, v[32:33]
	global_load_dwordx2 v[56:57], v[56:57], off
	s_waitcnt vmcnt(1)
	v_add_f64 v[26:27], v[34:35], -v[36:37]
	v_fmac_f64_e32 v[38:39], s[0:1], v[26:27]
	v_mad_u64_u32 v[26:27], s[10:11], v3, s29, v[2:3]
	v_ashrrev_i32_e32 v27, 31, v26
	v_lshlrev_b64 v[0:1], 3, v[26:27]
	v_lshl_add_u64 v[40:41], s[12:13], 0, v[0:1]
	global_load_dwordx2 v[42:43], v[40:41], off
	s_waitcnt vmcnt(0)
	v_fma_f64 v[38:39], -s[22:23], v[38:39], v[42:43]
	v_lshl_add_u64 v[42:43], s[6:7], 0, v[8:9]
	global_store_dwordx2 v[40:41], v[38:39], off
	v_lshl_add_u64 v[38:39], s[6:7], 0, v[4:5]
	v_lshl_add_u64 v[40:41], s[26:27], 0, v[4:5]
	global_load_dwordx2 v[42:43], v[42:43], off
	s_waitcnt vmcnt(0)
	v_mul_f64 v[42:43], v[42:43], v[44:45]
	global_load_dwordx2 v[38:39], v[38:39], off
	s_nop 0
	global_load_dwordx2 v[40:41], v[40:41], off
	s_waitcnt vmcnt(0)
	v_fma_f64 v[38:39], v[38:39], v[40:41], -v[42:43]
	v_lshl_add_u64 v[42:43], s[6:7], 0, v[10:11]
	global_load_dwordx2 v[42:43], v[42:43], off
	v_fma_f64 v[6:7], v[6:7], v[40:41], -v[16:17]
	global_load_dwordx2 v[58:59], v[58:59], off
	s_waitcnt vmcnt(1)
	v_fma_f64 v[42:43], v[42:43], v[46:47], -v[48:49]
	v_mul_f64 v[42:43], v[42:43], s[36:37]
	v_fma_f64 v[38:39], v[38:39], s[38:39], -v[42:43]
	v_lshl_add_u64 v[42:43], s[6:7], 0, v[20:21]
	v_lshl_add_u64 v[48:49], s[26:27], 0, v[20:21]
	global_load_dwordx2 v[42:43], v[42:43], off
	s_waitcnt vmcnt(1)
	v_mul_f64 v[56:57], v[56:57], v[58:59]
	global_load_dwordx2 v[48:49], v[48:49], off
	s_waitcnt vmcnt(0)
	v_fma_f64 v[42:43], v[42:43], v[48:49], -v[52:53]
	v_fmac_f64_e32 v[38:39], s[34:35], v[42:43]
	v_lshl_add_u64 v[42:43], s[6:7], 0, v[28:29]
	v_lshl_add_u64 v[52:53], s[26:27], 0, v[28:29]
	global_load_dwordx2 v[42:43], v[42:43], off
	s_nop 0
	global_load_dwordx2 v[52:53], v[52:53], off
	s_waitcnt vmcnt(0)
	v_fma_f64 v[42:43], v[42:43], v[52:53], -v[56:57]
	v_fmac_f64_e32 v[38:39], s[0:1], v[42:43]
	v_lshl_add_u64 v[42:43], s[14:15], 0, v[0:1]
	global_load_dwordx2 v[56:57], v[42:43], off
	s_waitcnt vmcnt(0)
	v_fma_f64 v[38:39], -s[22:23], v[38:39], v[56:57]
	global_store_dwordx2 v[42:43], v[38:39], off
	v_lshl_add_u64 v[38:39], s[8:9], 0, v[4:5]
	v_lshl_add_u64 v[42:43], s[8:9], 0, v[8:9]
	global_load_dwordx2 v[38:39], v[38:39], off
	v_lshl_add_u64 v[4:5], s[2:3], 0, v[4:5]
	global_load_dwordx2 v[42:43], v[42:43], off
	;; [unrolled: 2-line block ×4, first 2 shown]
	s_waitcnt vmcnt(0)
	v_add_f64 v[4:5], v[4:5], -v[8:9]
	global_load_dwordx2 v[56:57], v[56:57], off
	v_mul_f64 v[42:43], v[44:45], v[42:43]
	v_fma_f64 v[38:39], v[40:41], v[38:39], -v[42:43]
	v_lshl_add_u64 v[42:43], s[8:9], 0, v[10:11]
	v_lshl_add_u64 v[8:9], s[2:3], 0, v[10:11]
	;; [unrolled: 1-line block ×3, first 2 shown]
	global_load_dwordx2 v[8:9], v[8:9], off
	v_add_f64 v[4:5], v[6:7], v[4:5]
	global_load_dwordx2 v[10:11], v[10:11], off
	v_mul_f64 v[6:7], v[18:19], v[50:51]
	v_fma_f64 v[6:7], v[12:13], v[46:47], -v[6:7]
	global_load_dwordx2 v[42:43], v[42:43], off
	s_waitcnt vmcnt(3)
	v_mul_f64 v[56:57], v[50:51], v[56:57]
	s_waitcnt vmcnt(1)
	v_add_f64 v[8:9], v[8:9], -v[10:11]
	v_add_f64 v[6:7], v[6:7], v[8:9]
	v_lshl_add_u64 v[8:9], s[2:3], 0, v[20:21]
	v_lshl_add_u64 v[10:11], s[2:3], 0, v[22:23]
	global_load_dwordx2 v[8:9], v[8:9], off
	v_mul_f64 v[6:7], v[6:7], s[36:37]
	global_load_dwordx2 v[10:11], v[10:11], off
	v_fma_f64 v[4:5], v[4:5], s[38:39], -v[6:7]
	v_mul_f64 v[6:7], v[30:31], v[54:55]
	v_fma_f64 v[6:7], v[24:25], v[48:49], -v[6:7]
	s_waitcnt vmcnt(2)
	v_fma_f64 v[42:43], v[46:47], v[42:43], -v[56:57]
	v_mul_f64 v[42:43], v[42:43], s[36:37]
	v_fma_f64 v[38:39], v[38:39], s[38:39], -v[42:43]
	v_lshl_add_u64 v[42:43], s[8:9], 0, v[20:21]
	v_lshl_add_u64 v[56:57], s[8:9], 0, v[22:23]
	global_load_dwordx2 v[42:43], v[42:43], off
	s_waitcnt vmcnt(1)
	v_add_f64 v[8:9], v[8:9], -v[10:11]
	v_add_f64 v[6:7], v[6:7], v[8:9]
	v_lshl_add_u64 v[8:9], s[2:3], 0, v[28:29]
	v_lshl_add_u64 v[10:11], s[2:3], 0, v[32:33]
	global_load_dwordx2 v[8:9], v[8:9], off
	v_fmac_f64_e32 v[4:5], s[34:35], v[6:7]
	global_load_dwordx2 v[10:11], v[10:11], off
	v_mul_f64 v[6:7], v[36:37], v[58:59]
	v_fma_f64 v[6:7], v[34:35], v[52:53], -v[6:7]
	global_load_dwordx2 v[56:57], v[56:57], off
	s_waitcnt vmcnt(1)
	v_add_f64 v[8:9], v[8:9], -v[10:11]
	v_add_f64 v[6:7], v[6:7], v[8:9]
	v_fmac_f64_e32 v[4:5], s[0:1], v[6:7]
	v_lshl_add_u64 v[6:7], s[18:19], 0, v[0:1]
	global_load_dwordx2 v[8:9], v[6:7], off
	v_add_u32_e32 v10, -1, v3
	v_mad_u64_u32 v[10:11], s[6:7], v10, s29, v[2:3]
	v_ashrrev_i32_e32 v11, 31, v10
	v_lshlrev_b64 v[10:11], 3, v[10:11]
	v_lshl_add_u64 v[12:13], s[30:31], 0, v[10:11]
	v_lshl_add_u64 v[14:15], s[24:25], 0, v[10:11]
	;; [unrolled: 1-line block ×3, first 2 shown]
	global_load_dwordx2 v[12:13], v[12:13], off
	s_waitcnt vmcnt(2)
	v_mul_f64 v[56:57], v[54:55], v[56:57]
	global_load_dwordx2 v[14:15], v[14:15], off
	v_fma_f64 v[42:43], v[48:49], v[42:43], -v[56:57]
	global_load_dwordx2 v[10:11], v[10:11], off
	v_fmac_f64_e32 v[38:39], s[34:35], v[42:43]
	v_lshl_add_u64 v[42:43], s[8:9], 0, v[28:29]
	v_lshl_add_u64 v[56:57], s[8:9], 0, v[32:33]
	global_load_dwordx2 v[42:43], v[42:43], off
	s_waitcnt vmcnt(4)
	v_fma_f64 v[4:5], -s[22:23], v[4:5], v[8:9]
	global_store_dwordx2 v[6:7], v[4:5], off
	v_add_u32_e32 v4, s29, v26
	v_ashrrev_i32_e32 v5, 31, v4
	v_lshlrev_b64 v[4:5], 3, v[4:5]
	v_lshl_add_u64 v[6:7], s[30:31], 0, v[4:5]
	v_lshl_add_u64 v[8:9], s[24:25], 0, v[4:5]
	;; [unrolled: 1-line block ×3, first 2 shown]
	global_load_dwordx2 v[6:7], v[6:7], off
	s_waitcnt vmcnt(4)
	v_mul_f64 v[12:13], v[12:13], v[14:15]
	global_load_dwordx2 v[8:9], v[8:9], off
	s_waitcnt vmcnt(4)
	v_mul_f64 v[10:11], v[14:15], v[10:11]
	global_load_dwordx2 v[4:5], v[4:5], off
	s_waitcnt vmcnt(1)
	v_fma_f64 v[6:7], v[6:7], v[8:9], -v[12:13]
	v_add_u32_e32 v12, -2, v3
	s_waitcnt vmcnt(0)
	v_fma_f64 v[4:5], v[8:9], v[4:5], -v[10:11]
	v_add_f64 v[4:5], v[6:7], v[4:5]
	v_add_u32_e32 v6, 2, v3
	v_mad_u64_u32 v[12:13], s[6:7], v12, s29, v[2:3]
	v_mad_u64_u32 v[6:7], s[6:7], v6, s29, v[2:3]
	v_ashrrev_i32_e32 v13, 31, v12
	v_ashrrev_i32_e32 v7, 31, v6
	v_lshlrev_b64 v[12:13], 3, v[12:13]
	v_lshlrev_b64 v[6:7], 3, v[6:7]
	v_lshl_add_u64 v[14:15], s[30:31], 0, v[12:13]
	v_lshl_add_u64 v[16:17], s[24:25], 0, v[12:13]
	;; [unrolled: 1-line block ×5, first 2 shown]
	global_load_dwordx2 v[14:15], v[14:15], off
	v_lshl_add_u64 v[6:7], s[2:3], 0, v[6:7]
	global_load_dwordx2 v[16:17], v[16:17], off
	s_waitcnt vmcnt(0)
	v_mul_f64 v[14:15], v[14:15], v[16:17]
	global_load_dwordx2 v[12:13], v[12:13], off
	s_waitcnt vmcnt(0)
	v_mul_f64 v[12:13], v[16:17], v[12:13]
	global_load_dwordx2 v[8:9], v[8:9], off
	s_nop 0
	global_load_dwordx2 v[10:11], v[10:11], off
	s_waitcnt vmcnt(0)
	v_fma_f64 v[8:9], v[8:9], v[10:11], -v[14:15]
	global_load_dwordx2 v[6:7], v[6:7], off
	s_waitcnt vmcnt(0)
	v_fma_f64 v[6:7], v[10:11], v[6:7], -v[12:13]
	v_add_f64 v[6:7], v[8:9], v[6:7]
	v_mul_f64 v[6:7], v[6:7], s[36:37]
	v_add_u32_e32 v12, -3, v3
	v_fma_f64 v[4:5], v[4:5], s[38:39], -v[6:7]
	v_add_u32_e32 v6, 3, v3
	v_mad_u64_u32 v[12:13], s[6:7], v12, s29, v[2:3]
	v_mad_u64_u32 v[6:7], s[6:7], v6, s29, v[2:3]
	v_ashrrev_i32_e32 v13, 31, v12
	v_ashrrev_i32_e32 v7, 31, v6
	v_lshlrev_b64 v[12:13], 3, v[12:13]
	v_lshlrev_b64 v[6:7], 3, v[6:7]
	v_lshl_add_u64 v[14:15], s[30:31], 0, v[12:13]
	v_lshl_add_u64 v[16:17], s[24:25], 0, v[12:13]
	;; [unrolled: 1-line block ×5, first 2 shown]
	global_load_dwordx2 v[14:15], v[14:15], off
	v_lshl_add_u64 v[6:7], s[2:3], 0, v[6:7]
	global_load_dwordx2 v[16:17], v[16:17], off
	s_waitcnt vmcnt(0)
	v_mul_f64 v[14:15], v[14:15], v[16:17]
	global_load_dwordx2 v[12:13], v[12:13], off
	s_waitcnt vmcnt(0)
	v_mul_f64 v[12:13], v[16:17], v[12:13]
	global_load_dwordx2 v[8:9], v[8:9], off
	s_nop 0
	global_load_dwordx2 v[10:11], v[10:11], off
	s_waitcnt vmcnt(0)
	v_fma_f64 v[8:9], v[8:9], v[10:11], -v[14:15]
	global_load_dwordx2 v[6:7], v[6:7], off
	s_waitcnt vmcnt(0)
	v_fma_f64 v[6:7], v[10:11], v[6:7], -v[12:13]
	v_add_f64 v[6:7], v[8:9], v[6:7]
	v_fmac_f64_e32 v[4:5], s[34:35], v[6:7]
	v_add_u32_e32 v6, 4, v3
	v_mad_u64_u32 v[6:7], s[6:7], v6, s29, v[2:3]
	v_add_u32_e32 v3, -4, v3
	v_mad_u64_u32 v[2:3], s[6:7], v3, s29, v[2:3]
	v_ashrrev_i32_e32 v7, 31, v6
	v_ashrrev_i32_e32 v3, 31, v2
	v_lshlrev_b64 v[6:7], 3, v[6:7]
	v_lshlrev_b64 v[2:3], 3, v[2:3]
	v_lshl_add_u64 v[8:9], s[30:31], 0, v[6:7]
	v_lshl_add_u64 v[10:11], s[24:25], 0, v[6:7]
	;; [unrolled: 1-line block ×6, first 2 shown]
	global_load_dwordx2 v[56:57], v[56:57], off
	s_waitcnt vmcnt(0)
	v_mul_f64 v[56:57], v[58:59], v[56:57]
	global_load_dwordx2 v[12:13], v[12:13], off
	v_fma_f64 v[42:43], v[52:53], v[42:43], -v[56:57]
	global_load_dwordx2 v[14:15], v[14:15], off
	v_fmac_f64_e32 v[38:39], s[0:1], v[42:43]
	global_load_dwordx2 v[6:7], v[6:7], off
	v_lshl_add_u64 v[42:43], s[16:17], 0, v[0:1]
	global_load_dwordx2 v[2:3], v[2:3], off
	v_lshl_add_u64 v[0:1], s[4:5], 0, v[0:1]
	global_load_dwordx2 v[8:9], v[8:9], off
	s_waitcnt vmcnt(3)
	v_mul_f64 v[12:13], v[12:13], v[14:15]
	global_load_dwordx2 v[10:11], v[10:11], off
	s_waitcnt vmcnt(2)
	v_mul_f64 v[2:3], v[14:15], v[2:3]
	global_load_dwordx2 v[56:57], v[42:43], off
	s_waitcnt vmcnt(1)
	v_fma_f64 v[8:9], v[8:9], v[10:11], -v[12:13]
	v_fma_f64 v[2:3], v[10:11], v[6:7], -v[2:3]
	v_add_f64 v[2:3], v[8:9], v[2:3]
	v_fmac_f64_e32 v[4:5], s[0:1], v[2:3]
	global_load_dwordx2 v[2:3], v[0:1], off
	s_waitcnt vmcnt(1)
	v_fma_f64 v[38:39], -s[22:23], v[38:39], v[56:57]
	global_store_dwordx2 v[42:43], v[38:39], off
	s_waitcnt vmcnt(1)
	v_fma_f64 v[2:3], -s[20:21], v[4:5], v[2:3]
	global_store_dwordx2 v[0:1], v[2:3], off
.LBB2_2:
	s_endpgm
	.section	.rodata,"a",@progbits
	.p2align	6, 0x0
	.amdhsa_kernel _Z9hypterm_3PdS_S_S_S_PKdS1_S1_S1_S1_S1_S1_S1_dddiii
		.amdhsa_group_segment_fixed_size 0
		.amdhsa_private_segment_fixed_size 0
		.amdhsa_kernarg_size 400
		.amdhsa_user_sgpr_count 2
		.amdhsa_user_sgpr_dispatch_ptr 0
		.amdhsa_user_sgpr_queue_ptr 0
		.amdhsa_user_sgpr_kernarg_segment_ptr 1
		.amdhsa_user_sgpr_dispatch_id 0
		.amdhsa_user_sgpr_kernarg_preload_length 0
		.amdhsa_user_sgpr_kernarg_preload_offset 0
		.amdhsa_user_sgpr_private_segment_size 0
		.amdhsa_uses_dynamic_stack 0
		.amdhsa_enable_private_segment 0
		.amdhsa_system_sgpr_workgroup_id_x 1
		.amdhsa_system_sgpr_workgroup_id_y 1
		.amdhsa_system_sgpr_workgroup_id_z 1
		.amdhsa_system_sgpr_workgroup_info 0
		.amdhsa_system_vgpr_workitem_id 2
		.amdhsa_next_free_vgpr 60
		.amdhsa_next_free_sgpr 40
		.amdhsa_accum_offset 60
		.amdhsa_reserve_vcc 1
		.amdhsa_float_round_mode_32 0
		.amdhsa_float_round_mode_16_64 0
		.amdhsa_float_denorm_mode_32 3
		.amdhsa_float_denorm_mode_16_64 3
		.amdhsa_dx10_clamp 1
		.amdhsa_ieee_mode 1
		.amdhsa_fp16_overflow 0
		.amdhsa_tg_split 0
		.amdhsa_exception_fp_ieee_invalid_op 0
		.amdhsa_exception_fp_denorm_src 0
		.amdhsa_exception_fp_ieee_div_zero 0
		.amdhsa_exception_fp_ieee_overflow 0
		.amdhsa_exception_fp_ieee_underflow 0
		.amdhsa_exception_fp_ieee_inexact 0
		.amdhsa_exception_int_div_zero 0
	.end_amdhsa_kernel
	.text
.Lfunc_end2:
	.size	_Z9hypterm_3PdS_S_S_S_PKdS1_S1_S1_S1_S1_S1_S1_dddiii, .Lfunc_end2-_Z9hypterm_3PdS_S_S_S_PKdS1_S1_S1_S1_S1_S1_S1_dddiii
                                        ; -- End function
	.set _Z9hypterm_3PdS_S_S_S_PKdS1_S1_S1_S1_S1_S1_S1_dddiii.num_vgpr, 60
	.set _Z9hypterm_3PdS_S_S_S_PKdS1_S1_S1_S1_S1_S1_S1_dddiii.num_agpr, 0
	.set _Z9hypterm_3PdS_S_S_S_PKdS1_S1_S1_S1_S1_S1_S1_dddiii.numbered_sgpr, 40
	.set _Z9hypterm_3PdS_S_S_S_PKdS1_S1_S1_S1_S1_S1_S1_dddiii.num_named_barrier, 0
	.set _Z9hypterm_3PdS_S_S_S_PKdS1_S1_S1_S1_S1_S1_S1_dddiii.private_seg_size, 0
	.set _Z9hypterm_3PdS_S_S_S_PKdS1_S1_S1_S1_S1_S1_S1_dddiii.uses_vcc, 1
	.set _Z9hypterm_3PdS_S_S_S_PKdS1_S1_S1_S1_S1_S1_S1_dddiii.uses_flat_scratch, 0
	.set _Z9hypterm_3PdS_S_S_S_PKdS1_S1_S1_S1_S1_S1_S1_dddiii.has_dyn_sized_stack, 0
	.set _Z9hypterm_3PdS_S_S_S_PKdS1_S1_S1_S1_S1_S1_S1_dddiii.has_recursion, 0
	.set _Z9hypterm_3PdS_S_S_S_PKdS1_S1_S1_S1_S1_S1_S1_dddiii.has_indirect_call, 0
	.section	.AMDGPU.csdata,"",@progbits
; Kernel info:
; codeLenInByte = 2660
; TotalNumSgprs: 46
; NumVgprs: 60
; NumAgprs: 0
; TotalNumVgprs: 60
; ScratchSize: 0
; MemoryBound: 0
; FloatMode: 240
; IeeeMode: 1
; LDSByteSize: 0 bytes/workgroup (compile time only)
; SGPRBlocks: 5
; VGPRBlocks: 7
; NumSGPRsForWavesPerEU: 46
; NumVGPRsForWavesPerEU: 60
; AccumOffset: 60
; Occupancy: 8
; WaveLimiterHint : 0
; COMPUTE_PGM_RSRC2:SCRATCH_EN: 0
; COMPUTE_PGM_RSRC2:USER_SGPR: 2
; COMPUTE_PGM_RSRC2:TRAP_HANDLER: 0
; COMPUTE_PGM_RSRC2:TGID_X_EN: 1
; COMPUTE_PGM_RSRC2:TGID_Y_EN: 1
; COMPUTE_PGM_RSRC2:TGID_Z_EN: 1
; COMPUTE_PGM_RSRC2:TIDIG_COMP_CNT: 2
; COMPUTE_PGM_RSRC3_GFX90A:ACCUM_OFFSET: 14
; COMPUTE_PGM_RSRC3_GFX90A:TG_SPLIT: 0
	.text
	.p2alignl 6, 3212836864
	.fill 256, 4, 3212836864
	.section	.AMDGPU.gpr_maximums,"",@progbits
	.set amdgpu.max_num_vgpr, 0
	.set amdgpu.max_num_agpr, 0
	.set amdgpu.max_num_sgpr, 0
	.text
	.type	__hip_cuid_2d8f6e1936280027,@object ; @__hip_cuid_2d8f6e1936280027
	.section	.bss,"aw",@nobits
	.globl	__hip_cuid_2d8f6e1936280027
__hip_cuid_2d8f6e1936280027:
	.byte	0                               ; 0x0
	.size	__hip_cuid_2d8f6e1936280027, 1

	.ident	"AMD clang version 22.0.0git (https://github.com/RadeonOpenCompute/llvm-project roc-7.2.4 26084 f58b06dce1f9c15707c5f808fd002e18c2accf7e)"
	.section	".note.GNU-stack","",@progbits
	.addrsig
	.addrsig_sym __hip_cuid_2d8f6e1936280027
	.amdgpu_metadata
---
amdhsa.kernels:
  - .agpr_count:     0
    .args:
      - .actual_access:  write_only
        .address_space:  global
        .offset:         0
        .size:           8
        .value_kind:     global_buffer
      - .actual_access:  write_only
        .address_space:  global
        .offset:         8
        .size:           8
        .value_kind:     global_buffer
      - .actual_access:  write_only
        .address_space:  global
        .offset:         16
        .size:           8
        .value_kind:     global_buffer
      - .actual_access:  write_only
        .address_space:  global
        .offset:         24
        .size:           8
        .value_kind:     global_buffer
      - .actual_access:  write_only
        .address_space:  global
        .offset:         32
        .size:           8
        .value_kind:     global_buffer
      - .actual_access:  read_only
        .address_space:  global
        .offset:         40
        .size:           8
        .value_kind:     global_buffer
      - .actual_access:  read_only
        .address_space:  global
        .offset:         48
        .size:           8
        .value_kind:     global_buffer
      - .actual_access:  read_only
        .address_space:  global
        .offset:         56
        .size:           8
        .value_kind:     global_buffer
      - .actual_access:  read_only
        .address_space:  global
        .offset:         64
        .size:           8
        .value_kind:     global_buffer
      - .actual_access:  read_only
        .address_space:  global
        .offset:         72
        .size:           8
        .value_kind:     global_buffer
      - .actual_access:  read_only
        .address_space:  global
        .offset:         80
        .size:           8
        .value_kind:     global_buffer
      - .actual_access:  read_only
        .address_space:  global
        .offset:         88
        .size:           8
        .value_kind:     global_buffer
      - .actual_access:  read_only
        .address_space:  global
        .offset:         96
        .size:           8
        .value_kind:     global_buffer
      - .offset:         104
        .size:           8
        .value_kind:     by_value
      - .offset:         112
        .size:           8
        .value_kind:     by_value
      - .offset:         120
        .size:           8
        .value_kind:     by_value
      - .offset:         128
        .size:           4
        .value_kind:     by_value
      - .offset:         132
        .size:           4
        .value_kind:     by_value
      - .offset:         136
        .size:           4
        .value_kind:     by_value
      - .offset:         144
        .size:           4
        .value_kind:     hidden_block_count_x
      - .offset:         148
        .size:           4
        .value_kind:     hidden_block_count_y
      - .offset:         152
        .size:           4
        .value_kind:     hidden_block_count_z
      - .offset:         156
        .size:           2
        .value_kind:     hidden_group_size_x
      - .offset:         158
        .size:           2
        .value_kind:     hidden_group_size_y
      - .offset:         160
        .size:           2
        .value_kind:     hidden_group_size_z
      - .offset:         162
        .size:           2
        .value_kind:     hidden_remainder_x
      - .offset:         164
        .size:           2
        .value_kind:     hidden_remainder_y
      - .offset:         166
        .size:           2
        .value_kind:     hidden_remainder_z
      - .offset:         184
        .size:           8
        .value_kind:     hidden_global_offset_x
      - .offset:         192
        .size:           8
        .value_kind:     hidden_global_offset_y
      - .offset:         200
        .size:           8
        .value_kind:     hidden_global_offset_z
      - .offset:         208
        .size:           2
        .value_kind:     hidden_grid_dims
    .group_segment_fixed_size: 0
    .kernarg_segment_align: 8
    .kernarg_segment_size: 400
    .language:       OpenCL C
    .language_version:
      - 2
      - 0
    .max_flat_workgroup_size: 1024
    .name:           _Z9hypterm_1PdS_S_S_S_PKdS1_S1_S1_S1_S1_S1_S1_dddiii
    .private_segment_fixed_size: 0
    .sgpr_count:     36
    .sgpr_spill_count: 0
    .symbol:         _Z9hypterm_1PdS_S_S_S_PKdS1_S1_S1_S1_S1_S1_S1_dddiii.kd
    .uniform_work_group_size: 1
    .uses_dynamic_stack: false
    .vgpr_count:     52
    .vgpr_spill_count: 0
    .wavefront_size: 64
  - .agpr_count:     0
    .args:
      - .address_space:  global
        .offset:         0
        .size:           8
        .value_kind:     global_buffer
      - .address_space:  global
        .offset:         8
        .size:           8
        .value_kind:     global_buffer
      - .address_space:  global
        .offset:         16
        .size:           8
        .value_kind:     global_buffer
      - .address_space:  global
        .offset:         24
        .size:           8
        .value_kind:     global_buffer
      - .address_space:  global
        .offset:         32
        .size:           8
        .value_kind:     global_buffer
      - .actual_access:  read_only
        .address_space:  global
        .offset:         40
        .size:           8
        .value_kind:     global_buffer
      - .actual_access:  read_only
        .address_space:  global
        .offset:         48
        .size:           8
        .value_kind:     global_buffer
      - .actual_access:  read_only
        .address_space:  global
        .offset:         56
        .size:           8
        .value_kind:     global_buffer
      - .actual_access:  read_only
        .address_space:  global
        .offset:         64
        .size:           8
        .value_kind:     global_buffer
      - .actual_access:  read_only
        .address_space:  global
        .offset:         72
        .size:           8
        .value_kind:     global_buffer
      - .actual_access:  read_only
        .address_space:  global
        .offset:         80
        .size:           8
        .value_kind:     global_buffer
      - .actual_access:  read_only
        .address_space:  global
        .offset:         88
        .size:           8
        .value_kind:     global_buffer
      - .actual_access:  read_only
        .address_space:  global
        .offset:         96
        .size:           8
        .value_kind:     global_buffer
      - .offset:         104
        .size:           8
        .value_kind:     by_value
      - .offset:         112
        .size:           8
        .value_kind:     by_value
      - .offset:         120
        .size:           8
        .value_kind:     by_value
      - .offset:         128
        .size:           4
        .value_kind:     by_value
      - .offset:         132
        .size:           4
        .value_kind:     by_value
      - .offset:         136
        .size:           4
        .value_kind:     by_value
      - .offset:         144
        .size:           4
        .value_kind:     hidden_block_count_x
      - .offset:         148
        .size:           4
        .value_kind:     hidden_block_count_y
      - .offset:         152
        .size:           4
        .value_kind:     hidden_block_count_z
      - .offset:         156
        .size:           2
        .value_kind:     hidden_group_size_x
      - .offset:         158
        .size:           2
        .value_kind:     hidden_group_size_y
      - .offset:         160
        .size:           2
        .value_kind:     hidden_group_size_z
      - .offset:         162
        .size:           2
        .value_kind:     hidden_remainder_x
      - .offset:         164
        .size:           2
        .value_kind:     hidden_remainder_y
      - .offset:         166
        .size:           2
        .value_kind:     hidden_remainder_z
      - .offset:         184
        .size:           8
        .value_kind:     hidden_global_offset_x
      - .offset:         192
        .size:           8
        .value_kind:     hidden_global_offset_y
      - .offset:         200
        .size:           8
        .value_kind:     hidden_global_offset_z
      - .offset:         208
        .size:           2
        .value_kind:     hidden_grid_dims
    .group_segment_fixed_size: 0
    .kernarg_segment_align: 8
    .kernarg_segment_size: 400
    .language:       OpenCL C
    .language_version:
      - 2
      - 0
    .max_flat_workgroup_size: 1024
    .name:           _Z9hypterm_2PdS_S_S_S_PKdS1_S1_S1_S1_S1_S1_S1_dddiii
    .private_segment_fixed_size: 0
    .sgpr_count:     42
    .sgpr_spill_count: 0
    .symbol:         _Z9hypterm_2PdS_S_S_S_PKdS1_S1_S1_S1_S1_S1_S1_dddiii.kd
    .uniform_work_group_size: 1
    .uses_dynamic_stack: false
    .vgpr_count:     64
    .vgpr_spill_count: 0
    .wavefront_size: 64
  - .agpr_count:     0
    .args:
      - .address_space:  global
        .offset:         0
        .size:           8
        .value_kind:     global_buffer
      - .address_space:  global
        .offset:         8
        .size:           8
        .value_kind:     global_buffer
      - .address_space:  global
        .offset:         16
        .size:           8
        .value_kind:     global_buffer
      - .address_space:  global
        .offset:         24
        .size:           8
        .value_kind:     global_buffer
      - .address_space:  global
        .offset:         32
        .size:           8
        .value_kind:     global_buffer
      - .actual_access:  read_only
        .address_space:  global
        .offset:         40
        .size:           8
        .value_kind:     global_buffer
      - .actual_access:  read_only
        .address_space:  global
        .offset:         48
        .size:           8
        .value_kind:     global_buffer
      - .actual_access:  read_only
        .address_space:  global
        .offset:         56
        .size:           8
        .value_kind:     global_buffer
      - .actual_access:  read_only
        .address_space:  global
        .offset:         64
        .size:           8
        .value_kind:     global_buffer
      - .actual_access:  read_only
        .address_space:  global
        .offset:         72
        .size:           8
        .value_kind:     global_buffer
      - .actual_access:  read_only
        .address_space:  global
        .offset:         80
        .size:           8
        .value_kind:     global_buffer
      - .actual_access:  read_only
        .address_space:  global
        .offset:         88
        .size:           8
        .value_kind:     global_buffer
      - .actual_access:  read_only
        .address_space:  global
        .offset:         96
        .size:           8
        .value_kind:     global_buffer
      - .offset:         104
        .size:           8
        .value_kind:     by_value
      - .offset:         112
        .size:           8
        .value_kind:     by_value
      - .offset:         120
        .size:           8
        .value_kind:     by_value
      - .offset:         128
        .size:           4
        .value_kind:     by_value
      - .offset:         132
        .size:           4
        .value_kind:     by_value
      - .offset:         136
        .size:           4
        .value_kind:     by_value
      - .offset:         144
        .size:           4
        .value_kind:     hidden_block_count_x
      - .offset:         148
        .size:           4
        .value_kind:     hidden_block_count_y
      - .offset:         152
        .size:           4
        .value_kind:     hidden_block_count_z
      - .offset:         156
        .size:           2
        .value_kind:     hidden_group_size_x
      - .offset:         158
        .size:           2
        .value_kind:     hidden_group_size_y
      - .offset:         160
        .size:           2
        .value_kind:     hidden_group_size_z
      - .offset:         162
        .size:           2
        .value_kind:     hidden_remainder_x
      - .offset:         164
        .size:           2
        .value_kind:     hidden_remainder_y
      - .offset:         166
        .size:           2
        .value_kind:     hidden_remainder_z
      - .offset:         184
        .size:           8
        .value_kind:     hidden_global_offset_x
      - .offset:         192
        .size:           8
        .value_kind:     hidden_global_offset_y
      - .offset:         200
        .size:           8
        .value_kind:     hidden_global_offset_z
      - .offset:         208
        .size:           2
        .value_kind:     hidden_grid_dims
    .group_segment_fixed_size: 0
    .kernarg_segment_align: 8
    .kernarg_segment_size: 400
    .language:       OpenCL C
    .language_version:
      - 2
      - 0
    .max_flat_workgroup_size: 1024
    .name:           _Z9hypterm_3PdS_S_S_S_PKdS1_S1_S1_S1_S1_S1_S1_dddiii
    .private_segment_fixed_size: 0
    .sgpr_count:     46
    .sgpr_spill_count: 0
    .symbol:         _Z9hypterm_3PdS_S_S_S_PKdS1_S1_S1_S1_S1_S1_S1_dddiii.kd
    .uniform_work_group_size: 1
    .uses_dynamic_stack: false
    .vgpr_count:     60
    .vgpr_spill_count: 0
    .wavefront_size: 64
amdhsa.target:   amdgcn-amd-amdhsa--gfx950
amdhsa.version:
  - 1
  - 2
...

	.end_amdgpu_metadata
